;; amdgpu-corpus repo=amd/amd-lab-notes kind=compiled arch=gfx1100 opt=O3
	.text
	.amdgcn_target "amdgcn-amd-amdhsa--gfx1100"
	.amdhsa_code_object_version 6
	.protected	_Z24BoundaryConditionsKerneliiiddPKdPd ; -- Begin function _Z24BoundaryConditionsKerneliiiddPKdPd
	.globl	_Z24BoundaryConditionsKerneliiiddPKdPd
	.p2align	8
	.type	_Z24BoundaryConditionsKerneliiiddPKdPd,@function
_Z24BoundaryConditionsKerneliiiddPKdPd: ; @_Z24BoundaryConditionsKerneliiiddPKdPd
; %bb.0:
	s_clause 0x1
	s_load_b32 s2, s[0:1], 0x3c
	s_load_b128 s[8:11], s[0:1], 0x0
	s_waitcnt lgkmcnt(0)
	s_and_b32 s2, s2, 0xffff
	s_delay_alu instid0(SALU_CYCLE_1) | instskip(SKIP_1) | instid1(SALU_CYCLE_1)
	v_mad_u64_u32 v[1:2], null, s15, s2, v[0:1]
	s_add_i32 s2, s9, s8
	s_lshl_b32 s2, s2, 1
	s_delay_alu instid0(SALU_CYCLE_1)
	s_add_i32 s2, s2, -2
	s_delay_alu instid0(VALU_DEP_1) | instid1(SALU_CYCLE_1)
	v_cmp_gt_i32_e32 vcc_lo, s2, v1
	s_and_saveexec_b32 s2, vcc_lo
	s_cbranch_execz .LBB0_18
; %bb.1:
	v_mov_b32_e32 v0, 0
	s_add_i32 s11, s8, -1
	s_mov_b32 s2, exec_lo
	v_cmpx_le_i32_e64 s8, v1
	s_cbranch_execz .LBB0_7
; %bb.2:
	s_lshl_b32 s4, s8, 1
	s_mov_b32 s3, exec_lo
                                        ; implicit-def: $vgpr0
	v_cmpx_le_i32_e64 s4, v1
	s_xor_b32 s3, exec_lo, s3
; %bb.3:
	v_subrev_nc_u32_e32 v0, s4, v1
	s_add_i32 s4, s9, s4
	s_delay_alu instid0(SALU_CYCLE_1) | instskip(NEXT) | instid1(SALU_CYCLE_1)
	s_add_i32 s4, s4, -1
	v_cmp_gt_i32_e32 vcc_lo, s4, v1
	s_delay_alu instid0(VALU_DEP_2) | instskip(SKIP_2) | instid1(VALU_DEP_3)
	v_subrev_nc_u32_e32 v2, s9, v0
	v_add_nc_u32_e32 v0, 1, v0
	v_cndmask_b32_e64 v1, s11, 0, vcc_lo
	v_add_nc_u32_e32 v2, 2, v2
	s_delay_alu instid0(VALU_DEP_1)
	v_cndmask_b32_e32 v0, v2, v0, vcc_lo
; %bb.4:
	s_and_not1_saveexec_b32 s3, s3
; %bb.5:
	s_add_i32 s4, s9, -1
	v_subrev_nc_u32_e32 v1, s8, v1
	v_mov_b32_e32 v0, s4
; %bb.6:
	s_or_b32 exec_lo, exec_lo, s3
.LBB0_7:
	s_delay_alu instid0(SALU_CYCLE_1) | instskip(SKIP_3) | instid1(VALU_DEP_2)
	s_or_b32 exec_lo, exec_lo, s2
	s_load_b256 s[0:7], s[0:1], 0x10
	v_mov_b32_e32 v2, 0
	v_mov_b32_e32 v3, 0
	v_mad_u64_u32 v[6:7], null, v0, s10, v[1:2]
	s_mov_b32 s8, exec_lo
	s_delay_alu instid0(VALU_DEP_2)
	v_dual_mov_b32 v5, v3 :: v_dual_mov_b32 v4, v2
	v_cmpx_ne_u32_e32 0, v0
	s_cbranch_execz .LBB0_9
; %bb.8:
	s_delay_alu instid0(VALU_DEP_3) | instskip(NEXT) | instid1(VALU_DEP_1)
	v_subrev_nc_u32_e32 v4, s10, v6
	v_ashrrev_i32_e32 v5, 31, v4
	s_delay_alu instid0(VALU_DEP_1) | instskip(SKIP_1) | instid1(VALU_DEP_1)
	v_lshlrev_b64 v[4:5], 3, v[4:5]
	s_waitcnt lgkmcnt(0)
	v_add_co_u32 v4, vcc_lo, s4, v4
	s_delay_alu instid0(VALU_DEP_2)
	v_add_co_ci_u32_e32 v5, vcc_lo, s5, v5, vcc_lo
	global_load_b64 v[4:5], v[4:5], off
.LBB0_9:
	s_or_b32 exec_lo, exec_lo, s8
	s_add_i32 s8, s9, -1
	s_delay_alu instid0(SALU_CYCLE_1)
	v_cmp_ne_u32_e32 vcc_lo, s8, v0
	s_and_saveexec_b32 s8, vcc_lo
	s_cbranch_execz .LBB0_11
; %bb.10:
	v_add_nc_u32_e32 v2, s10, v6
	s_delay_alu instid0(VALU_DEP_1) | instskip(NEXT) | instid1(VALU_DEP_1)
	v_ashrrev_i32_e32 v3, 31, v2
	v_lshlrev_b64 v[2:3], 3, v[2:3]
	s_waitcnt lgkmcnt(0)
	s_delay_alu instid0(VALU_DEP_1) | instskip(NEXT) | instid1(VALU_DEP_2)
	v_add_co_u32 v2, vcc_lo, s4, v2
	v_add_co_ci_u32_e32 v3, vcc_lo, s5, v3, vcc_lo
	global_load_b64 v[2:3], v[2:3], off
.LBB0_11:
	s_or_b32 exec_lo, exec_lo, s8
	v_ashrrev_i32_e32 v7, 31, v6
	s_mov_b32 s8, exec_lo
                                        ; implicit-def: $vgpr8_vgpr9
	v_cmpx_ne_u32_e32 0, v1
	s_xor_b32 s8, exec_lo, s8
	s_cbranch_execz .LBB0_13
; %bb.12:
	v_lshlrev_b64 v[8:9], 3, v[6:7]
	s_waitcnt lgkmcnt(0)
	s_delay_alu instid0(VALU_DEP_1) | instskip(NEXT) | instid1(VALU_DEP_2)
	v_add_co_u32 v8, vcc_lo, s4, v8
	v_add_co_ci_u32_e32 v9, vcc_lo, s5, v9, vcc_lo
	global_load_b64 v[8:9], v[8:9], off offset:-8
.LBB0_13:
	s_and_not1_saveexec_b32 s8, s8
	s_cbranch_execz .LBB0_15
; %bb.14:
	s_waitcnt vmcnt(0)
	v_mov_b32_e32 v8, 0
	v_mov_b32_e32 v9, 0
.LBB0_15:
	s_or_b32 exec_lo, exec_lo, s8
	v_mov_b32_e32 v10, 0
	v_lshlrev_b64 v[6:7], 3, v[6:7]
	v_mov_b32_e32 v11, 0
	s_mov_b32 s8, exec_lo
	v_cmpx_ne_u32_e64 s11, v1
	s_cbranch_execz .LBB0_17
; %bb.16:
	s_waitcnt lgkmcnt(0)
	v_add_co_u32 v0, vcc_lo, s4, v6
	v_add_co_ci_u32_e32 v1, vcc_lo, s5, v7, vcc_lo
	global_load_b64 v[10:11], v[0:1], off offset:8
.LBB0_17:
	s_or_b32 exec_lo, exec_lo, s8
	s_waitcnt lgkmcnt(0)
	v_add_co_u32 v0, vcc_lo, s4, v6
	v_add_co_ci_u32_e32 v1, vcc_lo, s5, v7, vcc_lo
	global_load_b64 v[0:1], v[0:1], off
	s_waitcnt vmcnt(0)
	v_fma_f64 v[4:5], v[0:1], 2.0, -v[4:5]
	v_fma_f64 v[0:1], v[0:1], 2.0, -v[8:9]
	s_delay_alu instid0(VALU_DEP_2) | instskip(NEXT) | instid1(VALU_DEP_2)
	v_add_f64 v[2:3], v[4:5], -v[2:3]
	v_add_f64 v[0:1], v[0:1], -v[10:11]
	s_delay_alu instid0(VALU_DEP_2) | instskip(NEXT) | instid1(VALU_DEP_1)
	v_mul_f64 v[2:3], v[2:3], s[2:3]
	v_fma_f64 v[0:1], v[0:1], s[0:1], v[2:3]
	v_add_co_u32 v2, vcc_lo, s6, v6
	v_add_co_ci_u32_e32 v3, vcc_lo, s7, v7, vcc_lo
	global_store_b64 v[2:3], v[0:1], off glc slc dlc
.LBB0_18:
	s_nop 0
	s_sendmsg sendmsg(MSG_DEALLOC_VGPRS)
	s_endpgm
	.section	.rodata,"a",@progbits
	.p2align	6, 0x0
	.amdhsa_kernel _Z24BoundaryConditionsKerneliiiddPKdPd
		.amdhsa_group_segment_fixed_size 0
		.amdhsa_private_segment_fixed_size 0
		.amdhsa_kernarg_size 304
		.amdhsa_user_sgpr_count 15
		.amdhsa_user_sgpr_dispatch_ptr 0
		.amdhsa_user_sgpr_queue_ptr 0
		.amdhsa_user_sgpr_kernarg_segment_ptr 1
		.amdhsa_user_sgpr_dispatch_id 0
		.amdhsa_user_sgpr_private_segment_size 0
		.amdhsa_wavefront_size32 1
		.amdhsa_uses_dynamic_stack 0
		.amdhsa_enable_private_segment 0
		.amdhsa_system_sgpr_workgroup_id_x 1
		.amdhsa_system_sgpr_workgroup_id_y 0
		.amdhsa_system_sgpr_workgroup_id_z 0
		.amdhsa_system_sgpr_workgroup_info 0
		.amdhsa_system_vgpr_workitem_id 0
		.amdhsa_next_free_vgpr 12
		.amdhsa_next_free_sgpr 16
		.amdhsa_reserve_vcc 1
		.amdhsa_float_round_mode_32 0
		.amdhsa_float_round_mode_16_64 0
		.amdhsa_float_denorm_mode_32 3
		.amdhsa_float_denorm_mode_16_64 3
		.amdhsa_dx10_clamp 1
		.amdhsa_ieee_mode 1
		.amdhsa_fp16_overflow 0
		.amdhsa_workgroup_processor_mode 1
		.amdhsa_memory_ordered 1
		.amdhsa_forward_progress 0
		.amdhsa_shared_vgpr_count 0
		.amdhsa_exception_fp_ieee_invalid_op 0
		.amdhsa_exception_fp_denorm_src 0
		.amdhsa_exception_fp_ieee_div_zero 0
		.amdhsa_exception_fp_ieee_overflow 0
		.amdhsa_exception_fp_ieee_underflow 0
		.amdhsa_exception_fp_ieee_inexact 0
		.amdhsa_exception_int_div_zero 0
	.end_amdhsa_kernel
	.text
.Lfunc_end0:
	.size	_Z24BoundaryConditionsKerneliiiddPKdPd, .Lfunc_end0-_Z24BoundaryConditionsKerneliiiddPKdPd
                                        ; -- End function
	.section	.AMDGPU.csdata,"",@progbits
; Kernel info:
; codeLenInByte = 632
; NumSgprs: 18
; NumVgprs: 12
; ScratchSize: 0
; MemoryBound: 0
; FloatMode: 240
; IeeeMode: 1
; LDSByteSize: 0 bytes/workgroup (compile time only)
; SGPRBlocks: 2
; VGPRBlocks: 1
; NumSGPRsForWavesPerEU: 18
; NumVGPRsForWavesPerEU: 12
; Occupancy: 16
; WaveLimiterHint : 0
; COMPUTE_PGM_RSRC2:SCRATCH_EN: 0
; COMPUTE_PGM_RSRC2:USER_SGPR: 15
; COMPUTE_PGM_RSRC2:TRAP_HANDLER: 0
; COMPUTE_PGM_RSRC2:TGID_X_EN: 1
; COMPUTE_PGM_RSRC2:TGID_Y_EN: 0
; COMPUTE_PGM_RSRC2:TGID_Z_EN: 0
; COMPUTE_PGM_RSRC2:TIDIG_COMP_CNT: 0
	.text
	.p2alignl 7, 3214868480
	.fill 96, 4, 3214868480
	.type	__hip_cuid_e654ed96a8eee37c,@object ; @__hip_cuid_e654ed96a8eee37c
	.section	.bss,"aw",@nobits
	.globl	__hip_cuid_e654ed96a8eee37c
__hip_cuid_e654ed96a8eee37c:
	.byte	0                               ; 0x0
	.size	__hip_cuid_e654ed96a8eee37c, 1

	.ident	"AMD clang version 19.0.0git (https://github.com/RadeonOpenCompute/llvm-project roc-6.4.0 25133 c7fe45cf4b819c5991fe208aaa96edf142730f1d)"
	.section	".note.GNU-stack","",@progbits
	.addrsig
	.addrsig_sym __hip_cuid_e654ed96a8eee37c
	.amdgpu_metadata
---
amdhsa.kernels:
  - .args:
      - .offset:         0
        .size:           4
        .value_kind:     by_value
      - .offset:         4
        .size:           4
        .value_kind:     by_value
      - .offset:         8
        .size:           4
        .value_kind:     by_value
      - .offset:         16
        .size:           8
        .value_kind:     by_value
      - .offset:         24
        .size:           8
        .value_kind:     by_value
      - .address_space:  global
        .offset:         32
        .size:           8
        .value_kind:     global_buffer
      - .address_space:  global
        .offset:         40
        .size:           8
        .value_kind:     global_buffer
      - .offset:         48
        .size:           4
        .value_kind:     hidden_block_count_x
      - .offset:         52
        .size:           4
        .value_kind:     hidden_block_count_y
      - .offset:         56
        .size:           4
        .value_kind:     hidden_block_count_z
      - .offset:         60
        .size:           2
        .value_kind:     hidden_group_size_x
      - .offset:         62
        .size:           2
        .value_kind:     hidden_group_size_y
      - .offset:         64
        .size:           2
        .value_kind:     hidden_group_size_z
      - .offset:         66
        .size:           2
        .value_kind:     hidden_remainder_x
      - .offset:         68
        .size:           2
        .value_kind:     hidden_remainder_y
      - .offset:         70
        .size:           2
        .value_kind:     hidden_remainder_z
      - .offset:         88
        .size:           8
        .value_kind:     hidden_global_offset_x
      - .offset:         96
        .size:           8
        .value_kind:     hidden_global_offset_y
      - .offset:         104
        .size:           8
        .value_kind:     hidden_global_offset_z
      - .offset:         112
        .size:           2
        .value_kind:     hidden_grid_dims
    .group_segment_fixed_size: 0
    .kernarg_segment_align: 8
    .kernarg_segment_size: 304
    .language:       OpenCL C
    .language_version:
      - 2
      - 0
    .max_flat_workgroup_size: 256
    .name:           _Z24BoundaryConditionsKerneliiiddPKdPd
    .private_segment_fixed_size: 0
    .sgpr_count:     18
    .sgpr_spill_count: 0
    .symbol:         _Z24BoundaryConditionsKerneliiiddPKdPd.kd
    .uniform_work_group_size: 1
    .uses_dynamic_stack: false
    .vgpr_count:     12
    .vgpr_spill_count: 0
    .wavefront_size: 32
    .workgroup_processor_mode: 1
amdhsa.target:   amdgcn-amd-amdhsa--gfx1100
amdhsa.version:
  - 1
  - 2
...

	.end_amdgpu_metadata
